;; amdgpu-corpus repo=ROCm/rocFFT kind=compiled arch=gfx1030 opt=O3
	.text
	.amdgcn_target "amdgcn-amd-amdhsa--gfx1030"
	.amdhsa_code_object_version 6
	.protected	fft_rtc_back_len1680_factors_2_2_2_2_3_7_5_wgs_112_tpt_112_halfLds_sp_ip_CI_unitstride_sbrr_dirReg ; -- Begin function fft_rtc_back_len1680_factors_2_2_2_2_3_7_5_wgs_112_tpt_112_halfLds_sp_ip_CI_unitstride_sbrr_dirReg
	.globl	fft_rtc_back_len1680_factors_2_2_2_2_3_7_5_wgs_112_tpt_112_halfLds_sp_ip_CI_unitstride_sbrr_dirReg
	.p2align	8
	.type	fft_rtc_back_len1680_factors_2_2_2_2_3_7_5_wgs_112_tpt_112_halfLds_sp_ip_CI_unitstride_sbrr_dirReg,@function
fft_rtc_back_len1680_factors_2_2_2_2_3_7_5_wgs_112_tpt_112_halfLds_sp_ip_CI_unitstride_sbrr_dirReg: ; @fft_rtc_back_len1680_factors_2_2_2_2_3_7_5_wgs_112_tpt_112_halfLds_sp_ip_CI_unitstride_sbrr_dirReg
; %bb.0:
	s_clause 0x2
	s_load_dwordx4 s[8:11], s[4:5], 0x0
	s_load_dwordx2 s[2:3], s[4:5], 0x50
	s_load_dwordx2 s[12:13], s[4:5], 0x18
	v_mul_u32_u24_e32 v1, 0x24a, v0
	v_mov_b32_e32 v3, 0
	v_add_nc_u32_sdwa v5, s6, v1 dst_sel:DWORD dst_unused:UNUSED_PAD src0_sel:DWORD src1_sel:WORD_1
	v_mov_b32_e32 v1, 0
	v_mov_b32_e32 v6, v3
	v_mov_b32_e32 v2, 0
	s_waitcnt lgkmcnt(0)
	v_cmp_lt_u64_e64 s0, s[10:11], 2
	s_and_b32 vcc_lo, exec_lo, s0
	s_cbranch_vccnz .LBB0_8
; %bb.1:
	s_load_dwordx2 s[0:1], s[4:5], 0x10
	v_mov_b32_e32 v1, 0
	s_add_u32 s6, s12, 8
	v_mov_b32_e32 v2, 0
	s_addc_u32 s7, s13, 0
	s_mov_b64 s[16:17], 1
	s_waitcnt lgkmcnt(0)
	s_add_u32 s14, s0, 8
	s_addc_u32 s15, s1, 0
.LBB0_2:                                ; =>This Inner Loop Header: Depth=1
	s_load_dwordx2 s[18:19], s[14:15], 0x0
                                        ; implicit-def: $vgpr7_vgpr8
	s_mov_b32 s0, exec_lo
	s_waitcnt lgkmcnt(0)
	v_or_b32_e32 v4, s19, v6
	v_cmpx_ne_u64_e32 0, v[3:4]
	s_xor_b32 s1, exec_lo, s0
	s_cbranch_execz .LBB0_4
; %bb.3:                                ;   in Loop: Header=BB0_2 Depth=1
	v_cvt_f32_u32_e32 v4, s18
	v_cvt_f32_u32_e32 v7, s19
	s_sub_u32 s0, 0, s18
	s_subb_u32 s20, 0, s19
	v_fmac_f32_e32 v4, 0x4f800000, v7
	v_rcp_f32_e32 v4, v4
	v_mul_f32_e32 v4, 0x5f7ffffc, v4
	v_mul_f32_e32 v7, 0x2f800000, v4
	v_trunc_f32_e32 v7, v7
	v_fmac_f32_e32 v4, 0xcf800000, v7
	v_cvt_u32_f32_e32 v7, v7
	v_cvt_u32_f32_e32 v4, v4
	v_mul_lo_u32 v8, s0, v7
	v_mul_hi_u32 v9, s0, v4
	v_mul_lo_u32 v10, s20, v4
	v_add_nc_u32_e32 v8, v9, v8
	v_mul_lo_u32 v9, s0, v4
	v_add_nc_u32_e32 v8, v8, v10
	v_mul_hi_u32 v10, v4, v9
	v_mul_lo_u32 v11, v4, v8
	v_mul_hi_u32 v12, v4, v8
	v_mul_hi_u32 v13, v7, v9
	v_mul_lo_u32 v9, v7, v9
	v_mul_hi_u32 v14, v7, v8
	v_mul_lo_u32 v8, v7, v8
	v_add_co_u32 v10, vcc_lo, v10, v11
	v_add_co_ci_u32_e32 v11, vcc_lo, 0, v12, vcc_lo
	v_add_co_u32 v9, vcc_lo, v10, v9
	v_add_co_ci_u32_e32 v9, vcc_lo, v11, v13, vcc_lo
	v_add_co_ci_u32_e32 v10, vcc_lo, 0, v14, vcc_lo
	v_add_co_u32 v8, vcc_lo, v9, v8
	v_add_co_ci_u32_e32 v9, vcc_lo, 0, v10, vcc_lo
	v_add_co_u32 v4, vcc_lo, v4, v8
	v_add_co_ci_u32_e32 v7, vcc_lo, v7, v9, vcc_lo
	v_mul_hi_u32 v8, s0, v4
	v_mul_lo_u32 v10, s20, v4
	v_mul_lo_u32 v9, s0, v7
	v_add_nc_u32_e32 v8, v8, v9
	v_mul_lo_u32 v9, s0, v4
	v_add_nc_u32_e32 v8, v8, v10
	v_mul_hi_u32 v10, v4, v9
	v_mul_lo_u32 v11, v4, v8
	v_mul_hi_u32 v12, v4, v8
	v_mul_hi_u32 v13, v7, v9
	v_mul_lo_u32 v9, v7, v9
	v_mul_hi_u32 v14, v7, v8
	v_mul_lo_u32 v8, v7, v8
	v_add_co_u32 v10, vcc_lo, v10, v11
	v_add_co_ci_u32_e32 v11, vcc_lo, 0, v12, vcc_lo
	v_add_co_u32 v9, vcc_lo, v10, v9
	v_add_co_ci_u32_e32 v9, vcc_lo, v11, v13, vcc_lo
	v_add_co_ci_u32_e32 v10, vcc_lo, 0, v14, vcc_lo
	v_add_co_u32 v8, vcc_lo, v9, v8
	v_add_co_ci_u32_e32 v9, vcc_lo, 0, v10, vcc_lo
	v_add_co_u32 v4, vcc_lo, v4, v8
	v_add_co_ci_u32_e32 v11, vcc_lo, v7, v9, vcc_lo
	v_mul_hi_u32 v13, v5, v4
	v_mad_u64_u32 v[9:10], null, v6, v4, 0
	v_mad_u64_u32 v[7:8], null, v5, v11, 0
	;; [unrolled: 1-line block ×3, first 2 shown]
	v_add_co_u32 v4, vcc_lo, v13, v7
	v_add_co_ci_u32_e32 v7, vcc_lo, 0, v8, vcc_lo
	v_add_co_u32 v4, vcc_lo, v4, v9
	v_add_co_ci_u32_e32 v4, vcc_lo, v7, v10, vcc_lo
	v_add_co_ci_u32_e32 v7, vcc_lo, 0, v12, vcc_lo
	v_add_co_u32 v4, vcc_lo, v4, v11
	v_add_co_ci_u32_e32 v9, vcc_lo, 0, v7, vcc_lo
	v_mul_lo_u32 v10, s19, v4
	v_mad_u64_u32 v[7:8], null, s18, v4, 0
	v_mul_lo_u32 v11, s18, v9
	v_sub_co_u32 v7, vcc_lo, v5, v7
	v_add3_u32 v8, v8, v11, v10
	v_sub_nc_u32_e32 v10, v6, v8
	v_subrev_co_ci_u32_e64 v10, s0, s19, v10, vcc_lo
	v_add_co_u32 v11, s0, v4, 2
	v_add_co_ci_u32_e64 v12, s0, 0, v9, s0
	v_sub_co_u32 v13, s0, v7, s18
	v_sub_co_ci_u32_e32 v8, vcc_lo, v6, v8, vcc_lo
	v_subrev_co_ci_u32_e64 v10, s0, 0, v10, s0
	v_cmp_le_u32_e32 vcc_lo, s18, v13
	v_cmp_eq_u32_e64 s0, s19, v8
	v_cndmask_b32_e64 v13, 0, -1, vcc_lo
	v_cmp_le_u32_e32 vcc_lo, s19, v10
	v_cndmask_b32_e64 v14, 0, -1, vcc_lo
	v_cmp_le_u32_e32 vcc_lo, s18, v7
	;; [unrolled: 2-line block ×3, first 2 shown]
	v_cndmask_b32_e64 v15, 0, -1, vcc_lo
	v_cmp_eq_u32_e32 vcc_lo, s19, v10
	v_cndmask_b32_e64 v7, v15, v7, s0
	v_cndmask_b32_e32 v10, v14, v13, vcc_lo
	v_add_co_u32 v13, vcc_lo, v4, 1
	v_add_co_ci_u32_e32 v14, vcc_lo, 0, v9, vcc_lo
	v_cmp_ne_u32_e32 vcc_lo, 0, v10
	v_cndmask_b32_e32 v8, v14, v12, vcc_lo
	v_cndmask_b32_e32 v10, v13, v11, vcc_lo
	v_cmp_ne_u32_e32 vcc_lo, 0, v7
	v_cndmask_b32_e32 v8, v9, v8, vcc_lo
	v_cndmask_b32_e32 v7, v4, v10, vcc_lo
.LBB0_4:                                ;   in Loop: Header=BB0_2 Depth=1
	s_andn2_saveexec_b32 s0, s1
	s_cbranch_execz .LBB0_6
; %bb.5:                                ;   in Loop: Header=BB0_2 Depth=1
	v_cvt_f32_u32_e32 v4, s18
	s_sub_i32 s1, 0, s18
	v_rcp_iflag_f32_e32 v4, v4
	v_mul_f32_e32 v4, 0x4f7ffffe, v4
	v_cvt_u32_f32_e32 v4, v4
	v_mul_lo_u32 v7, s1, v4
	v_mul_hi_u32 v7, v4, v7
	v_add_nc_u32_e32 v4, v4, v7
	v_mul_hi_u32 v4, v5, v4
	v_mul_lo_u32 v7, v4, s18
	v_add_nc_u32_e32 v8, 1, v4
	v_sub_nc_u32_e32 v7, v5, v7
	v_subrev_nc_u32_e32 v9, s18, v7
	v_cmp_le_u32_e32 vcc_lo, s18, v7
	v_cndmask_b32_e32 v7, v7, v9, vcc_lo
	v_cndmask_b32_e32 v4, v4, v8, vcc_lo
	v_cmp_le_u32_e32 vcc_lo, s18, v7
	v_add_nc_u32_e32 v8, 1, v4
	v_cndmask_b32_e32 v7, v4, v8, vcc_lo
	v_mov_b32_e32 v8, v3
.LBB0_6:                                ;   in Loop: Header=BB0_2 Depth=1
	s_or_b32 exec_lo, exec_lo, s0
	s_load_dwordx2 s[0:1], s[6:7], 0x0
	v_mul_lo_u32 v4, v8, s18
	v_mul_lo_u32 v11, v7, s19
	v_mad_u64_u32 v[9:10], null, v7, s18, 0
	s_add_u32 s16, s16, 1
	s_addc_u32 s17, s17, 0
	s_add_u32 s6, s6, 8
	s_addc_u32 s7, s7, 0
	;; [unrolled: 2-line block ×3, first 2 shown]
	v_add3_u32 v4, v10, v11, v4
	v_sub_co_u32 v5, vcc_lo, v5, v9
	v_sub_co_ci_u32_e32 v4, vcc_lo, v6, v4, vcc_lo
	s_waitcnt lgkmcnt(0)
	v_mul_lo_u32 v6, s1, v5
	v_mul_lo_u32 v4, s0, v4
	v_mad_u64_u32 v[1:2], null, s0, v5, v[1:2]
	v_cmp_ge_u64_e64 s0, s[16:17], s[10:11]
	s_and_b32 vcc_lo, exec_lo, s0
	v_add3_u32 v2, v6, v2, v4
	s_cbranch_vccnz .LBB0_9
; %bb.7:                                ;   in Loop: Header=BB0_2 Depth=1
	v_mov_b32_e32 v5, v7
	v_mov_b32_e32 v6, v8
	s_branch .LBB0_2
.LBB0_8:
	v_mov_b32_e32 v8, v6
	v_mov_b32_e32 v7, v5
.LBB0_9:
	s_lshl_b64 s[0:1], s[10:11], 3
	v_mul_hi_u32 v5, 0x2492493, v0
	s_add_u32 s0, s12, s0
	s_addc_u32 s1, s13, s1
                                        ; implicit-def: $vgpr6
                                        ; implicit-def: $vgpr17
                                        ; implicit-def: $vgpr23
                                        ; implicit-def: $vgpr19
                                        ; implicit-def: $vgpr35
                                        ; implicit-def: $vgpr21
                                        ; implicit-def: $vgpr37
                                        ; implicit-def: $vgpr29
                                        ; implicit-def: $vgpr39
                                        ; implicit-def: $vgpr43
                                        ; implicit-def: $vgpr41
                                        ; implicit-def: $vgpr31
                                        ; implicit-def: $vgpr33
	s_load_dwordx2 s[0:1], s[0:1], 0x0
	s_load_dwordx2 s[4:5], s[4:5], 0x20
	s_waitcnt lgkmcnt(0)
	v_mul_lo_u32 v3, s0, v8
	v_mul_lo_u32 v4, s1, v7
	v_mad_u64_u32 v[1:2], null, s0, v7, v[1:2]
	v_cmp_gt_u64_e32 vcc_lo, s[4:5], v[7:8]
                                        ; implicit-def: $vgpr8
	v_add3_u32 v2, v4, v2, v3
	v_mul_u32_u24_e32 v3, 0x70, v5
                                        ; implicit-def: $vgpr4
	v_lshlrev_b64 v[26:27], 3, v[1:2]
	v_sub_nc_u32_e32 v24, v0, v3
                                        ; implicit-def: $vgpr2
	s_and_saveexec_b32 s1, vcc_lo
	s_cbranch_execz .LBB0_13
; %bb.10:
	v_mov_b32_e32 v25, 0
	v_add_co_u32 v2, s0, s2, v26
	v_add_co_ci_u32_e64 v3, s0, s3, v27, s0
	v_lshlrev_b64 v[0:1], 3, v[24:25]
	s_mov_b32 s4, exec_lo
                                        ; implicit-def: $vgpr42
	v_add_co_u32 v9, s0, v2, v0
	v_add_co_ci_u32_e64 v10, s0, v3, v1, s0
	v_add_co_u32 v11, s0, 0x1800, v9
	v_add_co_ci_u32_e64 v12, s0, 0, v10, s0
	;; [unrolled: 2-line block ×5, first 2 shown]
	v_add_co_u32 v38, s0, 0x2800, v9
	s_clause 0x5
	global_load_dwordx2 v[1:2], v[9:10], off
	global_load_dwordx2 v[3:4], v[9:10], off offset:896
	global_load_dwordx2 v[7:8], v[11:12], off offset:576
	;; [unrolled: 1-line block ×5, first 2 shown]
	v_add_co_ci_u32_e64 v39, s0, 0, v10, s0
	s_clause 0x7
	global_load_dwordx2 v[16:17], v[18:19], off offset:640
	global_load_dwordx2 v[22:23], v[13:14], off offset:1216
	;; [unrolled: 1-line block ×8, first 2 shown]
                                        ; implicit-def: $vgpr38
	v_cmpx_gt_u32_e32 56, v24
; %bb.11:
	v_add_co_u32 v9, s0, 0x3000, v9
	v_add_co_ci_u32_e64 v10, s0, 0, v10, s0
	s_clause 0x1
	global_load_dwordx2 v[38:39], v[11:12], off offset:128
	global_load_dwordx2 v[42:43], v[9:10], off offset:704
; %bb.12:
	s_or_b32 exec_lo, exec_lo, s4
.LBB0_13:
	s_or_b32 exec_lo, exec_lo, s1
	s_waitcnt vmcnt(11)
	v_sub_f32_e32 v10, v1, v7
	s_waitcnt vmcnt(8)
	v_sub_f32_e32 v14, v5, v30
	;; [unrolled: 2-line block ×5, first 2 shown]
	v_fma_f32 v9, v1, 2.0, -v10
	v_fma_f32 v13, v5, 2.0, -v14
	;; [unrolled: 1-line block ×4, first 2 shown]
	v_add_nc_u32_e32 v54, 0x70, v24
	s_waitcnt vmcnt(0)
	v_sub_f32_e32 v16, v28, v40
	v_add_nc_u32_e32 v55, 0xe0, v24
	v_sub_f32_e32 v1, v38, v42
	v_add_nc_u32_e32 v56, 0x150, v24
	v_add_nc_u32_e32 v57, 0x1c0, v24
	;; [unrolled: 1-line block ×5, first 2 shown]
	v_sub_f32_e32 v12, v3, v32
	v_fma_f32 v48, v20, 2.0, -v49
	v_lshl_add_u32 v30, v24, 3, 0
	v_lshl_add_u32 v22, v54, 3, 0
	v_fma_f32 v15, v28, 2.0, -v16
	v_lshl_add_u32 v20, v55, 3, 0
	v_fma_f32 v0, v38, 2.0, -v1
	v_lshl_add_u32 v34, v56, 3, 0
	v_lshl_add_u32 v38, v57, 3, 0
	;; [unrolled: 1-line block ×4, first 2 shown]
	v_cmp_gt_u32_e64 s0, 56, v24
	v_lshl_add_u32 v28, v5, 3, 0
	v_fma_f32 v11, v3, 2.0, -v12
	ds_write_b64 v30, v[9:10]
	ds_write_b64 v22, v[11:12]
	;; [unrolled: 1-line block ×7, first 2 shown]
	s_and_saveexec_b32 s1, s0
	s_cbranch_execz .LBB0_15
; %bb.14:
	ds_write_b64 v28, v[0:1]
.LBB0_15:
	s_or_b32 exec_lo, exec_lo, s1
	v_lshl_add_u32 v25, v24, 2, 0
	s_waitcnt lgkmcnt(0)
	s_barrier
	buffer_gl0_inv
	v_add_nc_u32_e32 v3, 0xa00, v25
	v_add_nc_u32_e32 v9, 0xe00, v25
	;; [unrolled: 1-line block ×5, first 2 shown]
	ds_read2_b32 v[15:16], v3 offset0:32 offset1:200
	v_add_nc_u32_e32 v3, 0x1400, v25
	ds_read2_b32 v[44:45], v25 offset1:112
	ds_read2_b32 v[13:14], v9 offset0:56 offset1:168
	ds_read2_b32 v[46:47], v10 offset0:96 offset1:208
	;; [unrolled: 1-line block ×5, first 2 shown]
	s_and_saveexec_b32 s1, s0
	s_cbranch_execz .LBB0_17
; %bb.16:
	ds_read_b32 v0, v25 offset:3136
	ds_read_b32 v1, v25 offset:6496
.LBB0_17:
	s_or_b32 exec_lo, exec_lo, s1
	v_sub_f32_e32 v51, v2, v8
	v_sub_f32_e32 v3, v39, v43
	v_sub_f32_e32 v53, v4, v33
	v_sub_f32_e32 v59, v6, v31
	v_sub_f32_e32 v42, v17, v23
	v_sub_f32_e32 v61, v19, v35
	v_fma_f32 v50, v2, 2.0, -v51
	v_sub_f32_e32 v63, v21, v37
	v_sub_f32_e32 v65, v29, v41
	v_fma_f32 v2, v39, 2.0, -v3
	v_fma_f32 v52, v4, 2.0, -v53
	;; [unrolled: 1-line block ×7, first 2 shown]
	s_waitcnt lgkmcnt(0)
	s_barrier
	buffer_gl0_inv
	ds_write_b64 v30, v[50:51]
	ds_write_b64 v22, v[52:53]
	;; [unrolled: 1-line block ×7, first 2 shown]
	s_and_saveexec_b32 s1, s0
	s_cbranch_execz .LBB0_19
; %bb.18:
	ds_write_b64 v28, v[2:3]
.LBB0_19:
	s_or_b32 exec_lo, exec_lo, s1
	v_add_nc_u32_e32 v4, 0xa00, v25
	s_waitcnt lgkmcnt(0)
	s_barrier
	buffer_gl0_inv
	ds_read2_b32 v[28:29], v25 offset1:112
	ds_read2_b32 v[21:22], v4 offset0:32 offset1:200
	v_add_nc_u32_e32 v4, 0xe00, v25
	v_add_nc_u32_e32 v6, 0x200, v25
	v_add_nc_u32_e32 v8, 0x1200, v25
	v_add_nc_u32_e32 v17, 0x600, v25
	v_add_nc_u32_e32 v19, 0x1400, v25
	ds_read2_b32 v[42:43], v4 offset0:56 offset1:168
	ds_read2_b32 v[30:31], v6 offset0:96 offset1:208
	;; [unrolled: 1-line block ×5, first 2 shown]
	v_lshlrev_b32_e32 v64, 1, v24
	v_lshlrev_b32_e32 v63, 1, v54
	;; [unrolled: 1-line block ×7, first 2 shown]
	s_and_saveexec_b32 s1, s0
	s_cbranch_execz .LBB0_21
; %bb.20:
	ds_read_b32 v2, v25 offset:3136
	ds_read_b32 v3, v25 offset:6496
.LBB0_21:
	s_or_b32 exec_lo, exec_lo, s1
	v_and_b32_e32 v8, 1, v24
	v_lshlrev_b32_e32 v58, 1, v5
	v_lshlrev_b32_e32 v4, 3, v8
	v_and_or_b32 v5, 0x1fc, v63, v8
	v_and_or_b32 v6, 0x3fc, v62, v8
	;; [unrolled: 1-line block ×4, first 2 shown]
	global_load_dwordx2 v[52:53], v4, s[8:9]
	v_and_or_b32 v4, 0xfc, v64, v8
	v_and_or_b32 v18, 0x5fc, v59, v8
	;; [unrolled: 1-line block ×3, first 2 shown]
	v_lshl_add_u32 v67, v5, 2, 0
	v_lshl_add_u32 v68, v6, 2, 0
	;; [unrolled: 1-line block ×7, first 2 shown]
	s_waitcnt vmcnt(0) lgkmcnt(0)
	s_barrier
	buffer_gl0_inv
	v_mul_f32_e32 v4, v22, v53
	v_mul_f32_e32 v20, v3, v53
	;; [unrolled: 1-line block ×8, first 2 shown]
	v_fmac_f32_e32 v4, v16, v52
	v_fmac_f32_e32 v20, v1, v52
	v_fmac_f32_e32 v5, v13, v52
	v_fmac_f32_e32 v6, v14, v52
	v_fmac_f32_e32 v7, v11, v52
	v_fmac_f32_e32 v17, v12, v52
	v_fmac_f32_e32 v18, v9, v52
	v_fmac_f32_e32 v19, v10, v52
	v_sub_f32_e32 v4, v44, v4
	v_sub_f32_e32 v65, v0, v20
	;; [unrolled: 1-line block ×8, first 2 shown]
	v_fma_f32 v20, v44, 2.0, -v4
	v_fma_f32 v0, v0, 2.0, -v65
	;; [unrolled: 1-line block ×8, first 2 shown]
	ds_write2_b32 v66, v20, v4 offset1:2
	ds_write2_b32 v67, v34, v5 offset1:2
	;; [unrolled: 1-line block ×7, first 2 shown]
	s_and_saveexec_b32 s1, s0
	s_cbranch_execz .LBB0_23
; %bb.22:
	v_and_or_b32 v4, 0x6fc, v58, v8
	v_lshl_add_u32 v4, v4, 2, 0
	ds_write2_b32 v4, v0, v65 offset1:2
.LBB0_23:
	s_or_b32 exec_lo, exec_lo, s1
	v_add_nc_u32_e32 v4, 0xa00, v25
	s_waitcnt lgkmcnt(0)
	s_barrier
	buffer_gl0_inv
	ds_read2_b32 v[34:35], v25 offset1:112
	ds_read2_b32 v[6:7], v4 offset0:32 offset1:200
	v_add_nc_u32_e32 v4, 0xe00, v25
	v_add_nc_u32_e32 v5, 0x200, v25
	;; [unrolled: 1-line block ×5, first 2 shown]
	ds_read2_b32 v[19:20], v4 offset0:56 offset1:168
	ds_read2_b32 v[36:37], v5 offset0:96 offset1:208
	;; [unrolled: 1-line block ×5, first 2 shown]
	s_and_saveexec_b32 s1, s0
	s_cbranch_execz .LBB0_25
; %bb.24:
	ds_read_b32 v0, v25 offset:3136
	ds_read_b32 v65, v25 offset:6496
.LBB0_25:
	s_or_b32 exec_lo, exec_lo, s1
	v_mul_f32_e32 v15, v16, v53
	v_mul_f32_e32 v1, v1, v53
	;; [unrolled: 1-line block ×6, first 2 shown]
	v_fma_f32 v15, v22, v52, -v15
	v_mul_f32_e32 v9, v9, v53
	v_mul_f32_e32 v10, v10, v53
	v_fma_f32 v1, v3, v52, -v1
	v_fma_f32 v13, v42, v52, -v13
	;; [unrolled: 1-line block ×6, first 2 shown]
	v_sub_f32_e32 v15, v28, v15
	v_fma_f32 v10, v41, v52, -v10
	v_sub_f32_e32 v51, v2, v1
	v_sub_f32_e32 v13, v29, v13
	;; [unrolled: 1-line block ×5, first 2 shown]
	v_fma_f32 v3, v28, 2.0, -v15
	v_sub_f32_e32 v9, v33, v9
	v_sub_f32_e32 v10, v21, v10
	v_fma_f32 v16, v2, 2.0, -v51
	v_fma_f32 v22, v29, 2.0, -v13
	;; [unrolled: 1-line block ×7, first 2 shown]
	s_waitcnt lgkmcnt(0)
	s_barrier
	buffer_gl0_inv
	ds_write2_b32 v66, v3, v15 offset1:2
	ds_write2_b32 v67, v22, v13 offset1:2
	;; [unrolled: 1-line block ×7, first 2 shown]
	s_and_saveexec_b32 s1, s0
	s_cbranch_execz .LBB0_27
; %bb.26:
	v_and_or_b32 v1, 0x6fc, v58, v8
	v_lshl_add_u32 v1, v1, 2, 0
	ds_write2_b32 v1, v16, v51 offset1:2
.LBB0_27:
	s_or_b32 exec_lo, exec_lo, s1
	v_add_nc_u32_e32 v1, 0xa00, v25
	s_waitcnt lgkmcnt(0)
	s_barrier
	buffer_gl0_inv
	ds_read2_b32 v[30:31], v25 offset1:112
	ds_read2_b32 v[12:13], v1 offset0:32 offset1:200
	v_add_nc_u32_e32 v1, 0xe00, v25
	v_add_nc_u32_e32 v2, 0x200, v25
	;; [unrolled: 1-line block ×5, first 2 shown]
	ds_read2_b32 v[44:45], v1 offset0:56 offset1:168
	ds_read2_b32 v[32:33], v2 offset0:96 offset1:208
	;; [unrolled: 1-line block ×5, first 2 shown]
	s_and_saveexec_b32 s1, s0
	s_cbranch_execz .LBB0_29
; %bb.28:
	ds_read_b32 v16, v25 offset:3136
	ds_read_b32 v51, v25 offset:6496
.LBB0_29:
	s_or_b32 exec_lo, exec_lo, s1
	v_and_b32_e32 v52, 3, v24
	v_lshlrev_b32_e32 v1, 3, v52
	v_and_or_b32 v3, 0x3f8, v62, v52
	v_and_or_b32 v2, 0x1f8, v63, v52
	;; [unrolled: 1-line block ×4, first 2 shown]
	global_load_dwordx2 v[48:49], v1, s[8:9] offset:16
	v_and_or_b32 v1, 0xf8, v64, v52
	v_and_or_b32 v10, 0x5f8, v59, v52
	;; [unrolled: 1-line block ×3, first 2 shown]
	v_lshl_add_u32 v67, v3, 2, 0
	v_lshl_add_u32 v66, v2, 2, 0
	;; [unrolled: 1-line block ×7, first 2 shown]
	s_waitcnt vmcnt(0) lgkmcnt(0)
	s_barrier
	buffer_gl0_inv
	v_mul_f32_e32 v1, v13, v49
	v_mul_f32_e32 v3, v45, v49
	;; [unrolled: 1-line block ×8, first 2 shown]
	v_fmac_f32_e32 v1, v7, v48
	v_fmac_f32_e32 v3, v20, v48
	;; [unrolled: 1-line block ×8, first 2 shown]
	v_sub_f32_e32 v1, v34, v1
	v_sub_f32_e32 v3, v36, v3
	;; [unrolled: 1-line block ×8, first 2 shown]
	v_fma_f32 v14, v34, 2.0, -v1
	v_fma_f32 v21, v36, 2.0, -v3
	;; [unrolled: 1-line block ×8, first 2 shown]
	ds_write2_b32 v53, v14, v1 offset1:4
	ds_write2_b32 v66, v15, v2 offset1:4
	;; [unrolled: 1-line block ×7, first 2 shown]
	s_and_saveexec_b32 s1, s0
	s_cbranch_execz .LBB0_31
; %bb.30:
	v_and_or_b32 v0, 0x6f8, v58, v52
	v_lshl_add_u32 v0, v0, 2, 0
	ds_write2_b32 v0, v36, v50 offset1:4
.LBB0_31:
	s_or_b32 exec_lo, exec_lo, s1
	v_add_nc_u32_e32 v0, 0xa00, v25
	s_waitcnt lgkmcnt(0)
	s_barrier
	buffer_gl0_inv
	ds_read2_b32 v[14:15], v25 offset1:112
	ds_read2_b32 v[2:3], v0 offset0:32 offset1:200
	v_add_nc_u32_e32 v0, 0xe00, v25
	v_add_nc_u32_e32 v1, 0x200, v25
	;; [unrolled: 1-line block ×5, first 2 shown]
	ds_read2_b32 v[10:11], v0 offset0:56 offset1:168
	ds_read2_b32 v[21:22], v1 offset0:96 offset1:208
	;; [unrolled: 1-line block ×5, first 2 shown]
	s_and_saveexec_b32 s1, s0
	s_cbranch_execz .LBB0_33
; %bb.32:
	ds_read_b32 v36, v25 offset:3136
	ds_read_b32 v50, v25 offset:6496
.LBB0_33:
	s_or_b32 exec_lo, exec_lo, s1
	v_mul_f32_e32 v6, v7, v49
	v_mul_f32_e32 v7, v19, v49
	;; [unrolled: 1-line block ×5, first 2 shown]
	v_fma_f32 v6, v13, v48, -v6
	v_mul_f32_e32 v4, v4, v49
	v_fma_f32 v13, v45, v48, -v19
	v_mul_f32_e32 v19, v65, v49
	v_mul_f32_e32 v5, v5, v49
	v_fma_f32 v7, v44, v48, -v7
	v_fma_f32 v17, v46, v48, -v17
	;; [unrolled: 1-line block ×5, first 2 shown]
	v_sub_f32_e32 v6, v30, v6
	v_fma_f32 v5, v43, v48, -v5
	v_sub_f32_e32 v7, v31, v7
	v_sub_f32_e32 v20, v16, v19
	v_sub_f32_e32 v13, v32, v13
	v_sub_f32_e32 v17, v33, v17
	v_sub_f32_e32 v18, v40, v18
	v_fma_f32 v30, v30, 2.0, -v6
	v_sub_f32_e32 v4, v41, v4
	v_sub_f32_e32 v5, v12, v5
	v_fma_f32 v37, v16, 2.0, -v20
	v_fma_f32 v31, v31, 2.0, -v7
	;; [unrolled: 1-line block ×7, first 2 shown]
	s_waitcnt lgkmcnt(0)
	s_barrier
	buffer_gl0_inv
	ds_write2_b32 v53, v30, v6 offset1:4
	ds_write2_b32 v66, v31, v7 offset1:4
	;; [unrolled: 1-line block ×7, first 2 shown]
	s_and_saveexec_b32 s1, s0
	s_cbranch_execz .LBB0_35
; %bb.34:
	v_and_or_b32 v4, 0x6f8, v58, v52
	v_lshl_add_u32 v4, v4, 2, 0
	ds_write2_b32 v4, v37, v20 offset1:4
.LBB0_35:
	s_or_b32 exec_lo, exec_lo, s1
	v_add_nc_u32_e32 v6, 0xa00, v25
	s_waitcnt lgkmcnt(0)
	s_barrier
	buffer_gl0_inv
	ds_read2_b32 v[4:5], v25 offset1:112
	ds_read2_b32 v[16:17], v6 offset0:32 offset1:200
	v_add_nc_u32_e32 v6, 0xe00, v25
	v_add_nc_u32_e32 v7, 0x200, v25
	;; [unrolled: 1-line block ×5, first 2 shown]
	ds_read2_b32 v[12:13], v6 offset0:56 offset1:168
	ds_read2_b32 v[18:19], v7 offset0:96 offset1:208
	;; [unrolled: 1-line block ×5, first 2 shown]
	s_and_saveexec_b32 s1, s0
	s_cbranch_execz .LBB0_37
; %bb.36:
	ds_read_b32 v37, v25 offset:3136
	ds_read_b32 v20, v25 offset:6496
.LBB0_37:
	s_or_b32 exec_lo, exec_lo, s1
	v_and_b32_e32 v38, 7, v24
	v_lshlrev_b32_e32 v34, 3, v38
	v_and_or_b32 v23, 0x7f0, v23, v38
	v_and_or_b32 v39, 0xf0, v64, v38
	;; [unrolled: 1-line block ×4, first 2 shown]
	global_load_dwordx2 v[34:35], v34, s[8:9] offset:48
	v_lshl_add_u32 v46, v23, 2, 0
	v_and_or_b32 v42, 0x3f0, v61, v38
	v_and_or_b32 v43, 0x7f0, v60, v38
	;; [unrolled: 1-line block ×3, first 2 shown]
	v_lshl_add_u32 v39, v39, 2, 0
	v_lshl_add_u32 v40, v40, 2, 0
	v_lshl_add_u32 v41, v41, 2, 0
	v_lshl_add_u32 v42, v42, 2, 0
	v_lshl_add_u32 v43, v43, 2, 0
	v_lshl_add_u32 v44, v44, 2, 0
	s_waitcnt vmcnt(0) lgkmcnt(0)
	s_barrier
	buffer_gl0_inv
	v_mul_f32_e32 v23, v17, v35
	v_mul_f32_e32 v45, v12, v35
	;; [unrolled: 1-line block ×8, first 2 shown]
	v_fmac_f32_e32 v23, v3, v34
	v_fmac_f32_e32 v45, v10, v34
	;; [unrolled: 1-line block ×8, first 2 shown]
	v_sub_f32_e32 v59, v14, v23
	v_sub_f32_e32 v45, v15, v45
	;; [unrolled: 1-line block ×8, first 2 shown]
	v_fma_f32 v14, v14, 2.0, -v59
	v_fma_f32 v15, v15, 2.0, -v45
	;; [unrolled: 1-line block ×7, first 2 shown]
	ds_write2_b32 v39, v14, v59 offset1:8
	ds_write2_b32 v40, v15, v45 offset1:8
	;; [unrolled: 1-line block ×7, first 2 shown]
	s_and_saveexec_b32 s1, s0
	s_cbranch_execz .LBB0_39
; %bb.38:
	v_and_or_b32 v2, 0x6f0, v58, v38
	v_fma_f32 v14, v36, 2.0, -v23
	v_lshl_add_u32 v2, v2, 2, 0
	ds_write2_b32 v2, v14, v23 offset1:8
.LBB0_39:
	s_or_b32 exec_lo, exec_lo, s1
	v_mul_f32_e32 v2, v3, v35
	v_mul_f32_e32 v3, v10, v35
	;; [unrolled: 1-line block ×5, first 2 shown]
	v_fma_f32 v2, v17, v34, -v2
	v_fma_f32 v3, v12, v34, -v3
	;; [unrolled: 1-line block ×3, first 2 shown]
	v_mul_f32_e32 v9, v50, v35
	v_mul_f32_e32 v0, v0, v35
	;; [unrolled: 1-line block ×3, first 2 shown]
	v_fma_f32 v10, v13, v34, -v10
	v_fma_f32 v8, v32, v34, -v8
	v_sub_f32_e32 v29, v4, v2
	v_sub_f32_e32 v35, v5, v3
	v_add_nc_u32_e32 v22, 0x1000, v25
	v_add_nc_u32_e32 v17, 0x600, v25
	;; [unrolled: 1-line block ×3, first 2 shown]
	v_fma_f32 v36, v20, v34, -v9
	v_add_nc_u32_e32 v20, 0x200, v25
	v_add_nc_u32_e32 v33, 0x1400, v25
	v_fma_f32 v0, v6, v34, -v0
	v_fma_f32 v1, v7, v34, -v1
	v_add_nc_u32_e32 v34, 0xc00, v25
	v_fma_f32 v47, v4, 2.0, -v29
	v_fma_f32 v48, v5, 2.0, -v35
	v_sub_f32_e32 v49, v18, v10
	v_sub_f32_e32 v50, v19, v8
	s_waitcnt lgkmcnt(0)
	s_barrier
	buffer_gl0_inv
	ds_read2_b32 v[4:5], v25 offset1:112
	ds_read2_b32 v[2:3], v17 offset0:64 offset1:176
	ds_read2_b32 v[14:15], v22 offset0:96 offset1:208
	;; [unrolled: 1-line block ×6, first 2 shown]
	ds_read_b32 v21, v25 offset:6272
	v_sub_f32_e32 v28, v30, v28
	v_sub_f32_e32 v0, v31, v0
	;; [unrolled: 1-line block ×4, first 2 shown]
	v_fma_f32 v18, v18, 2.0, -v49
	v_fma_f32 v19, v19, 2.0, -v50
	;; [unrolled: 1-line block ×5, first 2 shown]
	s_waitcnt lgkmcnt(0)
	s_barrier
	buffer_gl0_inv
	ds_write2_b32 v39, v47, v29 offset1:8
	ds_write2_b32 v40, v48, v35 offset1:8
	;; [unrolled: 1-line block ×7, first 2 shown]
	s_and_saveexec_b32 s1, s0
	s_cbranch_execz .LBB0_41
; %bb.40:
	v_and_or_b32 v0, 0x6f0, v58, v38
	v_fma_f32 v1, v37, 2.0, -v45
	v_lshl_add_u32 v0, v0, 2, 0
	ds_write2_b32 v0, v1, v45 offset1:8
.LBB0_41:
	s_or_b32 exec_lo, exec_lo, s1
	v_and_b32_e32 v16, 15, v24
	s_waitcnt lgkmcnt(0)
	s_barrier
	buffer_gl0_inv
	v_lshrrev_b32_e32 v36, 4, v54
	v_lshlrev_b32_e32 v0, 4, v16
	v_lshrrev_b32_e32 v44, 4, v55
	v_lshrrev_b32_e32 v37, 4, v56
	;; [unrolled: 1-line block ×4, first 2 shown]
	global_load_dwordx4 v[65:68], v0, s[8:9] offset:112
	ds_read2_b32 v[28:29], v25 offset1:112
	ds_read2_b32 v[0:1], v17 offset0:64 offset1:176
	ds_read2_b32 v[18:19], v22 offset0:96 offset1:208
	;; [unrolled: 1-line block ×6, first 2 shown]
	ds_read_b32 v22, v25 offset:6272
	v_mul_u32_u24_e32 v36, 48, v36
	v_mul_u32_u24_e32 v39, 48, v44
	;; [unrolled: 1-line block ×5, first 2 shown]
	v_or_b32_e32 v36, v36, v16
	v_or_b32_e32 v40, v39, v16
	;; [unrolled: 1-line block ×5, first 2 shown]
	v_lshl_add_u32 v38, v36, 2, 0
	v_lshl_add_u32 v37, v40, 2, 0
	;; [unrolled: 1-line block ×5, first 2 shown]
	v_add_nc_u32_e32 v33, 0xe00, v25
	v_add_nc_u32_e32 v34, 0x1200, v25
	;; [unrolled: 1-line block ×3, first 2 shown]
	s_waitcnt vmcnt(0) lgkmcnt(0)
	s_barrier
	buffer_gl0_inv
	v_cmp_gt_u32_e64 s0, 16, v24
	v_mul_f32_e32 v57, v1, v66
	v_mul_f32_e32 v58, v18, v68
	;; [unrolled: 1-line block ×12, first 2 shown]
	v_fmac_f32_e32 v57, v3, v65
	v_fmac_f32_e32 v58, v14, v67
	v_mul_f32_e32 v50, v12, v66
	v_mul_f32_e32 v53, v15, v68
	v_fmac_f32_e32 v48, v12, v65
	v_fmac_f32_e32 v51, v15, v67
	v_mul_f32_e32 v56, v13, v66
	v_mul_f32_e32 v59, v10, v68
	;; [unrolled: 1-line block ×6, first 2 shown]
	v_fmac_f32_e32 v49, v13, v65
	v_fmac_f32_e32 v52, v10, v67
	;; [unrolled: 1-line block ×6, first 2 shown]
	v_fma_f32 v64, v1, v65, -v16
	v_fma_f32 v61, v18, v67, -v46
	v_add_f32_e32 v8, v57, v58
	v_fma_f32 v63, v69, v65, -v50
	v_fma_f32 v60, v19, v67, -v53
	v_add_f32_e32 v11, v48, v51
	v_fma_f32 v62, v70, v65, -v56
	v_fma_f32 v59, v71, v67, -v59
	;; [unrolled: 1-line block ×6, first 2 shown]
	v_add_f32_e32 v14, v49, v52
	v_add_f32_e32 v18, v40, v42
	;; [unrolled: 1-line block ×4, first 2 shown]
	v_sub_f32_e32 v9, v64, v61
	v_fma_f32 v4, -0.5, v8, v4
	v_add_f32_e32 v10, v5, v48
	v_sub_f32_e32 v12, v63, v60
	v_fmac_f32_e32 v5, -0.5, v11
	v_add_f32_e32 v13, v6, v49
	v_sub_f32_e32 v15, v62, v59
	v_add_f32_e32 v16, v7, v40
	v_sub_f32_e32 v19, v53, v1
	;; [unrolled: 2-line block ×3, first 2 shown]
	v_fma_f32 v6, -0.5, v14, v6
	v_fmac_f32_e32 v7, -0.5, v18
	v_fmac_f32_e32 v2, -0.5, v22
	v_add_f32_e32 v3, v3, v58
	v_fmamk_f32 v14, v9, 0xbf5db3d7, v4
	v_fmac_f32_e32 v4, 0x3f5db3d7, v9
	v_add_f32_e32 v8, v10, v51
	v_fmamk_f32 v9, v12, 0xbf5db3d7, v5
	v_fmac_f32_e32 v5, 0x3f5db3d7, v12
	v_add_f32_e32 v10, v13, v52
	v_add_f32_e32 v11, v16, v42
	;; [unrolled: 1-line block ×3, first 2 shown]
	v_fmamk_f32 v12, v15, 0xbf5db3d7, v6
	v_fmac_f32_e32 v6, 0x3f5db3d7, v15
	v_fmamk_f32 v15, v19, 0xbf5db3d7, v7
	v_fmamk_f32 v16, v46, 0xbf5db3d7, v2
	v_fmac_f32_e32 v7, 0x3f5db3d7, v19
	v_fmac_f32_e32 v2, 0x3f5db3d7, v46
	ds_write2_b32 v39, v3, v14 offset1:16
	ds_write_b32 v39, v4 offset:128
	ds_write2_b32 v38, v8, v9 offset1:16
	ds_write_b32 v38, v5 offset:128
	;; [unrolled: 2-line block ×5, first 2 shown]
	s_waitcnt lgkmcnt(0)
	s_barrier
	buffer_gl0_inv
	ds_read2_b32 v[5:6], v25 offset1:112
	ds_read2_b32 v[21:22], v20 offset0:112 offset1:224
	ds_read2_b32 v[19:20], v17 offset0:96 offset1:208
	;; [unrolled: 1-line block ×6, first 2 shown]
                                        ; implicit-def: $vgpr9
                                        ; implicit-def: $vgpr7
                                        ; implicit-def: $vgpr46
	s_and_saveexec_b32 s1, s0
	s_cbranch_execz .LBB0_43
; %bb.42:
	v_add_nc_u32_e32 v2, 0x380, v25
	v_add_nc_u32_e32 v4, 0xb00, v25
	;; [unrolled: 1-line block ×3, first 2 shown]
	ds_read2_b32 v[2:3], v2 offset1:240
	ds_read2_b32 v[9:10], v4 offset1:240
	;; [unrolled: 1-line block ×3, first 2 shown]
	ds_read_b32 v46, v25 offset:6656
	s_waitcnt lgkmcnt(3)
	v_mov_b32_e32 v23, v3
.LBB0_43:
	s_or_b32 exec_lo, exec_lo, s1
	v_add_f32_e32 v3, v64, v61
	v_sub_f32_e32 v32, v57, v58
	v_add_f32_e32 v57, v63, v60
	v_add_f32_e32 v58, v62, v59
	;; [unrolled: 1-line block ×3, first 2 shown]
	v_fma_f32 v3, -0.5, v3, v28
	v_add_f32_e32 v28, v29, v63
	v_fmac_f32_e32 v29, -0.5, v57
	v_sub_f32_e32 v49, v49, v52
	v_add_f32_e32 v4, v4, v61
	v_fmamk_f32 v57, v32, 0x3f5db3d7, v3
	v_fmac_f32_e32 v3, 0xbf5db3d7, v32
	v_sub_f32_e32 v32, v48, v51
	v_add_f32_e32 v48, v30, v62
	v_fma_f32 v30, -0.5, v58, v30
	v_sub_f32_e32 v40, v40, v42
	v_add_f32_e32 v42, v0, v56
	v_fmamk_f32 v51, v32, 0x3f5db3d7, v29
	v_fmac_f32_e32 v29, 0xbf5db3d7, v32
	v_add_f32_e32 v32, v48, v59
	v_add_f32_e32 v48, v53, v1
	v_fmamk_f32 v52, v49, 0x3f5db3d7, v30
	v_fmac_f32_e32 v30, 0xbf5db3d7, v49
	v_add_f32_e32 v49, v56, v50
	v_add_f32_e32 v53, v31, v53
	v_fmac_f32_e32 v31, -0.5, v48
	v_sub_f32_e32 v41, v41, v43
	v_add_f32_e32 v28, v28, v60
	v_fmac_f32_e32 v0, -0.5, v49
	v_add_f32_e32 v1, v53, v1
	v_fmamk_f32 v43, v40, 0x3f5db3d7, v31
	v_fmac_f32_e32 v31, 0xbf5db3d7, v40
	v_add_f32_e32 v40, v42, v50
	v_fmamk_f32 v42, v41, 0x3f5db3d7, v0
	v_fmac_f32_e32 v0, 0xbf5db3d7, v41
	s_waitcnt lgkmcnt(0)
	s_barrier
	buffer_gl0_inv
	ds_write2_b32 v39, v4, v57 offset1:16
	ds_write_b32 v39, v3 offset:128
	ds_write2_b32 v38, v28, v51 offset1:16
	ds_write_b32 v38, v29 offset:128
	;; [unrolled: 2-line block ×5, first 2 shown]
	v_add_nc_u32_e32 v1, 0x200, v25
	v_add_nc_u32_e32 v28, 0x600, v25
	v_add_nc_u32_e32 v29, 0xa00, v25
	s_waitcnt lgkmcnt(0)
	s_barrier
	buffer_gl0_inv
	ds_read2_b32 v[3:4], v25 offset1:112
	ds_read2_b32 v[42:43], v1 offset0:112 offset1:224
	ds_read2_b32 v[40:41], v28 offset0:96 offset1:208
	;; [unrolled: 1-line block ×6, first 2 shown]
                                        ; implicit-def: $vgpr30
                                        ; implicit-def: $vgpr28
                                        ; implicit-def: $vgpr49
	s_and_saveexec_b32 s1, s0
	s_cbranch_execz .LBB0_45
; %bb.44:
	v_add_nc_u32_e32 v0, 0x380, v25
	v_add_nc_u32_e32 v28, 0xb00, v25
	;; [unrolled: 1-line block ×3, first 2 shown]
	ds_read2_b32 v[0:1], v0 offset1:240
	ds_read2_b32 v[30:31], v28 offset1:240
	;; [unrolled: 1-line block ×3, first 2 shown]
	ds_read_b32 v49, v25 offset:6656
	s_waitcnt lgkmcnt(3)
	v_mov_b32_e32 v45, v1
.LBB0_45:
	s_or_b32 exec_lo, exec_lo, s1
	v_and_b32_e32 v1, 0xff, v24
	v_and_b32_e32 v47, 0xff, v54
	v_mov_b32_e32 v48, 6
	v_mul_lo_u16 v1, 0xab, v1
	v_lshrrev_b16 v84, 13, v1
	v_mul_lo_u16 v1, 0xab, v47
	v_mul_lo_u16 v47, v84, 48
	v_lshrrev_b16 v85, 13, v1
	v_sub_nc_u16 v86, v24, v47
	v_mul_lo_u16 v1, v85, 48
	v_mul_u32_u24_sdwa v47, v86, v48 dst_sel:DWORD dst_unused:UNUSED_PAD src0_sel:BYTE_0 src1_sel:DWORD
	v_sub_nc_u16 v87, v54, v1
	v_lshlrev_b32_e32 v1, 3, v47
	v_mul_u32_u24_sdwa v47, v87, v48 dst_sel:DWORD dst_unused:UNUSED_PAD src0_sel:BYTE_0 src1_sel:DWORD
	global_load_dwordx4 v[50:53], v1, s[8:9] offset:368
	v_lshlrev_b32_e32 v72, 3, v47
	v_mov_b32_e32 v47, 0xaaab
	s_clause 0x1
	global_load_dwordx4 v[56:59], v72, s[8:9] offset:368
	global_load_dwordx4 v[60:63], v1, s[8:9] offset:384
	v_mul_u32_u24_sdwa v47, v55, v47 dst_sel:DWORD dst_unused:UNUSED_PAD src0_sel:WORD_0 src1_sel:DWORD
	s_clause 0x2
	global_load_dwordx4 v[64:67], v72, s[8:9] offset:384
	global_load_dwordx4 v[68:71], v1, s[8:9] offset:400
	;; [unrolled: 1-line block ×3, first 2 shown]
	v_lshrrev_b32_e32 v47, 21, v47
	v_mul_lo_u16 v47, v47, 48
	v_sub_nc_u16 v47, v55, v47
	v_and_b32_e32 v88, 0xffff, v47
	v_mul_u32_u24_e32 v76, 6, v88
	s_waitcnt vmcnt(5) lgkmcnt(5)
	v_mul_f32_e32 v48, v42, v51
	v_mul_f32_e32 v1, v21, v51
	s_waitcnt lgkmcnt(4)
	v_mul_f32_e32 v47, v40, v53
	v_mul_f32_e32 v51, v19, v53
	v_fmac_f32_e32 v48, v21, v50
	v_fma_f32 v21, v42, v50, -v1
	v_fmac_f32_e32 v47, v19, v52
	v_fma_f32 v19, v40, v52, -v51
	s_waitcnt vmcnt(4)
	v_mul_f32_e32 v1, v43, v57
	v_mul_f32_e32 v42, v22, v57
	;; [unrolled: 1-line block ×3, first 2 shown]
	v_lshlrev_b32_e32 v51, 3, v76
	v_mul_f32_e32 v52, v20, v59
	v_fmac_f32_e32 v1, v22, v56
	s_waitcnt vmcnt(3) lgkmcnt(3)
	v_mul_f32_e32 v50, v38, v61
	v_mul_f32_e32 v22, v17, v61
	v_fma_f32 v42, v43, v56, -v42
	v_fmac_f32_e32 v40, v20, v58
	s_waitcnt lgkmcnt(2)
	v_mul_f32_e32 v43, v36, v63
	v_mul_f32_e32 v20, v15, v63
	s_clause 0x1
	global_load_dwordx4 v[76:79], v51, s[8:9] offset:368
	global_load_dwordx4 v[80:83], v51, s[8:9] offset:384
	v_fmac_f32_e32 v50, v17, v60
	v_fma_f32 v53, v38, v60, -v22
	v_fmac_f32_e32 v43, v15, v62
	v_fma_f32 v56, v36, v62, -v20
	global_load_dwordx4 v[60:63], v51, s[8:9] offset:400
	v_mov_b32_e32 v15, 0x540
	v_mov_b32_e32 v20, 2
	s_waitcnt vmcnt(5)
	v_mul_f32_e32 v38, v37, v67
	v_fma_f32 v41, v41, v58, -v52
	s_waitcnt vmcnt(4) lgkmcnt(1)
	v_mul_f32_e32 v57, v34, v69
	v_mul_u32_u24_sdwa v17, v84, v15 dst_sel:DWORD dst_unused:UNUSED_PAD src0_sel:WORD_0 src1_sel:DWORD
	v_mul_u32_u24_sdwa v15, v85, v15 dst_sel:DWORD dst_unused:UNUSED_PAD src0_sel:WORD_0 src1_sel:DWORD
	v_lshlrev_b32_sdwa v22, v20, v86 dst_sel:DWORD dst_unused:UNUSED_PAD src0_sel:DWORD src1_sel:BYTE_0
	v_lshlrev_b32_sdwa v36, v20, v87 dst_sel:DWORD dst_unused:UNUSED_PAD src0_sel:DWORD src1_sel:BYTE_0
	s_waitcnt lgkmcnt(0)
	v_mul_f32_e32 v58, v32, v71
	v_fmac_f32_e32 v38, v16, v66
	s_waitcnt vmcnt(3)
	v_mul_f32_e32 v51, v35, v73
	v_add3_u32 v20, 0, v17, v22
	v_add3_u32 v17, 0, v15, v36
	v_mul_f32_e32 v36, v39, v65
	v_mul_f32_e32 v22, v18, v65
	;; [unrolled: 1-line block ×3, first 2 shown]
	v_fmac_f32_e32 v57, v13, v68
	v_fmac_f32_e32 v58, v11, v70
	;; [unrolled: 1-line block ×3, first 2 shown]
	v_mul_f32_e32 v18, v16, v67
	v_mul_f32_e32 v16, v11, v71
	v_fma_f32 v39, v39, v64, -v22
	v_mul_f32_e32 v22, v13, v69
	v_mul_f32_e32 v64, v12, v75
	v_fma_f32 v37, v37, v66, -v18
	v_mul_f32_e32 v18, v14, v73
	v_fma_f32 v59, v32, v70, -v16
	v_fmac_f32_e32 v51, v14, v72
	v_fmac_f32_e32 v52, v12, v74
	v_fma_f32 v34, v34, v68, -v22
	v_fma_f32 v32, v35, v72, -v18
	;; [unrolled: 1-line block ×3, first 2 shown]
	v_lshl_add_u32 v15, v88, 2, 0
	s_waitcnt vmcnt(0)
	s_barrier
	buffer_gl0_inv
	v_mul_f32_e32 v12, v45, v77
	v_mul_f32_e32 v35, v9, v79
	v_mul_f32_e32 v14, v28, v83
	v_mul_f32_e32 v65, v7, v83
	v_mul_f32_e32 v22, v23, v77
	v_mul_f32_e32 v11, v30, v79
	v_mul_f32_e32 v64, v10, v81
	v_mul_f32_e32 v16, v29, v61
	v_mul_f32_e32 v61, v8, v61
	v_mul_f32_e32 v18, v49, v63
	v_fmac_f32_e32 v12, v23, v76
	v_fma_f32 v23, v30, v78, -v35
	v_fmac_f32_e32 v14, v7, v82
	v_fma_f32 v7, v28, v82, -v65
	v_add_f32_e32 v28, v48, v58
	v_add_f32_e32 v30, v47, v57
	v_mul_f32_e32 v13, v31, v81
	v_mul_f32_e32 v63, v46, v63
	v_fma_f32 v22, v45, v76, -v22
	v_fmac_f32_e32 v11, v9, v78
	v_fma_f32 v9, v31, v80, -v64
	v_fmac_f32_e32 v16, v8, v60
	v_fma_f32 v8, v29, v60, -v61
	v_fmac_f32_e32 v18, v46, v62
	v_sub_f32_e32 v29, v21, v59
	v_sub_f32_e32 v31, v19, v34
	v_add_f32_e32 v35, v50, v43
	v_sub_f32_e32 v45, v56, v53
	v_add_f32_e32 v46, v1, v52
	v_add_f32_e32 v60, v40, v51
	;; [unrolled: 1-line block ×3, first 2 shown]
	v_fmac_f32_e32 v13, v10, v80
	v_fma_f32 v10, v49, v62, -v63
	v_sub_f32_e32 v49, v42, v33
	v_sub_f32_e32 v61, v41, v32
	;; [unrolled: 1-line block ×3, first 2 shown]
	v_add_f32_e32 v62, v36, v38
	v_sub_f32_e32 v65, v30, v28
	v_sub_f32_e32 v28, v28, v35
	;; [unrolled: 1-line block ×3, first 2 shown]
	v_add_f32_e32 v66, v45, v31
	v_sub_f32_e32 v67, v45, v31
	v_sub_f32_e32 v31, v31, v29
	v_add_f32_e32 v68, v60, v46
	v_add_f32_e32 v35, v35, v64
	;; [unrolled: 1-line block ×3, first 2 shown]
	v_sub_f32_e32 v71, v63, v61
	v_sub_f32_e32 v61, v61, v49
	;; [unrolled: 1-line block ×6, first 2 shown]
	v_add_f32_e32 v29, v66, v29
	v_mul_f32_e32 v28, 0x3f4a47b2, v28
	v_mul_f32_e32 v64, 0x3d64c772, v30
	v_mul_f32_e32 v66, 0x3f08b237, v67
	v_mul_f32_e32 v67, 0xbf5ff5aa, v31
	v_add_f32_e32 v62, v62, v68
	v_add_f32_e32 v5, v5, v35
	v_sub_f32_e32 v63, v49, v63
	v_add_f32_e32 v49, v70, v49
	v_mul_f32_e32 v70, 0x3f08b237, v71
	v_mul_f32_e32 v71, 0xbf5ff5aa, v61
	;; [unrolled: 1-line block ×3, first 2 shown]
	v_fmamk_f32 v30, v30, 0x3d64c772, v28
	v_fma_f32 v64, 0x3f3bfb3b, v65, -v64
	v_fma_f32 v28, 0xbf3bfb3b, v65, -v28
	v_fmamk_f32 v65, v45, 0xbeae86e6, v66
	v_fma_f32 v31, 0xbf5ff5aa, v31, -v66
	v_fma_f32 v45, 0x3eae86e6, v45, -v67
	v_add_f32_e32 v6, v6, v62
	v_mul_f32_e32 v68, 0x3d64c772, v60
	v_fmamk_f32 v35, v35, 0xbf955555, v5
	v_fmamk_f32 v67, v63, 0xbeae86e6, v70
	v_fma_f32 v61, 0xbf5ff5aa, v61, -v70
	v_fma_f32 v63, 0x3eae86e6, v63, -v71
	v_fmamk_f32 v60, v60, 0x3d64c772, v46
	v_fmac_f32_e32 v65, 0xbee1c552, v29
	v_fmac_f32_e32 v31, 0xbee1c552, v29
	;; [unrolled: 1-line block ×3, first 2 shown]
	v_fmamk_f32 v29, v62, 0xbf955555, v6
	v_fma_f32 v66, 0x3f3bfb3b, v69, -v68
	v_fma_f32 v46, 0xbf3bfb3b, v69, -v46
	v_add_f32_e32 v30, v30, v35
	v_fmac_f32_e32 v67, 0xbee1c552, v49
	v_fmac_f32_e32 v61, 0xbee1c552, v49
	;; [unrolled: 1-line block ×3, first 2 shown]
	v_add_f32_e32 v49, v64, v35
	v_add_f32_e32 v28, v28, v35
	;; [unrolled: 1-line block ×7, first 2 shown]
	v_sub_f32_e32 v64, v49, v31
	v_add_f32_e32 v31, v31, v49
	v_sub_f32_e32 v28, v28, v45
	v_sub_f32_e32 v30, v30, v65
	v_add_f32_e32 v45, v67, v35
	v_add_f32_e32 v49, v63, v29
	v_sub_f32_e32 v65, v60, v61
	v_add_f32_e32 v60, v61, v60
	v_sub_f32_e32 v29, v29, v63
	v_sub_f32_e32 v35, v35, v67
	ds_write2_b32 v20, v5, v46 offset1:48
	ds_write2_b32 v20, v62, v64 offset0:96 offset1:144
	ds_write2_b32 v20, v31, v28 offset0:192 offset1:240
	ds_write_b32 v20, v30 offset:1152
	ds_write2_b32 v17, v6, v45 offset1:48
	ds_write2_b32 v17, v49, v65 offset0:96 offset1:144
	ds_write2_b32 v17, v60, v29 offset0:192 offset1:240
	ds_write_b32 v17, v35 offset:1152
	s_and_saveexec_b32 s1, s0
	s_cbranch_execz .LBB0_47
; %bb.46:
	v_add_f32_e32 v5, v12, v18
	v_add_f32_e32 v28, v11, v16
	;; [unrolled: 1-line block ×3, first 2 shown]
	v_sub_f32_e32 v29, v7, v9
	v_sub_f32_e32 v35, v23, v8
	;; [unrolled: 1-line block ×3, first 2 shown]
	v_add_f32_e32 v31, v28, v5
	v_sub_f32_e32 v30, v5, v6
	v_sub_f32_e32 v46, v6, v28
	;; [unrolled: 1-line block ×4, first 2 shown]
	v_add_f32_e32 v6, v6, v31
	v_sub_f32_e32 v31, v29, v35
	v_mul_f32_e32 v30, 0x3f4a47b2, v30
	v_mul_f32_e32 v60, 0x3d64c772, v46
	v_sub_f32_e32 v61, v45, v29
	v_add_f32_e32 v2, v2, v6
	v_add_f32_e32 v29, v29, v35
	v_mul_f32_e32 v31, 0x3f08b237, v31
	v_mul_f32_e32 v28, 0xbf5ff5aa, v49
	v_fmamk_f32 v46, v46, 0x3d64c772, v30
	v_fmamk_f32 v6, v6, 0xbf955555, v2
	v_add_f32_e32 v29, v29, v45
	v_fma_f32 v30, 0xbf3bfb3b, v5, -v30
	v_fma_f32 v35, 0xbf5ff5aa, v49, -v31
	;; [unrolled: 1-line block ×3, first 2 shown]
	v_fmamk_f32 v31, v61, 0xbeae86e6, v31
	v_fma_f32 v28, 0x3eae86e6, v61, -v28
	v_add_f32_e32 v30, v30, v6
	v_fmac_f32_e32 v35, 0xbee1c552, v29
	v_add_f32_e32 v5, v5, v6
	v_add_f32_e32 v6, v46, v6
	v_fmac_f32_e32 v31, 0xbee1c552, v29
	v_fmac_f32_e32 v28, 0xbee1c552, v29
	v_add_nc_u32_e32 v46, 0x1400, v15
	v_add_f32_e32 v45, v35, v5
	v_sub_f32_e32 v5, v5, v35
	v_add_f32_e32 v35, v31, v6
	v_sub_f32_e32 v29, v30, v28
	v_add_f32_e32 v28, v28, v30
	v_add_nc_u32_e32 v30, 0x1800, v15
	v_sub_f32_e32 v6, v6, v31
	ds_write2_b32 v46, v2, v35 offset0:64 offset1:112
	ds_write2_b32 v46, v28, v5 offset0:160 offset1:208
	ds_write2_b32 v30, v45, v29 offset1:48
	ds_write_b32 v15, v6 offset:6528
.LBB0_47:
	s_or_b32 exec_lo, exec_lo, s1
	v_add_f32_e32 v2, v21, v59
	v_add_f32_e32 v5, v19, v34
	;; [unrolled: 1-line block ×3, first 2 shown]
	v_sub_f32_e32 v21, v47, v57
	v_sub_f32_e32 v28, v43, v50
	;; [unrolled: 1-line block ×3, first 2 shown]
	v_add_f32_e32 v29, v5, v2
	v_sub_f32_e32 v30, v5, v2
	v_sub_f32_e32 v2, v2, v19
	;; [unrolled: 1-line block ×3, first 2 shown]
	v_add_f32_e32 v31, v28, v21
	v_add_f32_e32 v19, v19, v29
	v_sub_f32_e32 v29, v28, v21
	v_sub_f32_e32 v28, v6, v28
	;; [unrolled: 1-line block ×3, first 2 shown]
	v_add_f32_e32 v6, v31, v6
	v_add_f32_e32 v3, v3, v19
	v_mul_f32_e32 v31, 0x3d64c772, v5
	v_mul_f32_e32 v29, 0x3f08b237, v29
	;; [unrolled: 1-line block ×4, first 2 shown]
	v_fmamk_f32 v19, v19, 0xbf955555, v3
	v_fma_f32 v31, 0x3f3bfb3b, v30, -v31
	v_fma_f32 v21, 0xbf5ff5aa, v21, -v29
	v_fmamk_f32 v43, v28, 0xbeae86e6, v29
	v_fma_f32 v45, 0x3eae86e6, v28, -v34
	v_add_f32_e32 v29, v41, v32
	v_add_f32_e32 v28, v31, v19
	v_fmac_f32_e32 v21, 0xbee1c552, v6
	v_fmamk_f32 v5, v5, 0x3d64c772, v2
	v_fma_f32 v2, 0xbf3bfb3b, v30, -v2
	v_sub_f32_e32 v1, v1, v52
	v_add_f32_e32 v30, v39, v37
	v_add_f32_e32 v46, v21, v28
	v_sub_f32_e32 v21, v28, v21
	v_add_f32_e32 v28, v42, v33
	v_sub_f32_e32 v31, v40, v51
	v_sub_f32_e32 v32, v38, v36
	s_waitcnt lgkmcnt(0)
	s_barrier
	v_add_f32_e32 v33, v29, v28
	v_sub_f32_e32 v34, v29, v28
	v_sub_f32_e32 v28, v28, v30
	;; [unrolled: 1-line block ×3, first 2 shown]
	v_add_f32_e32 v35, v32, v31
	v_add_f32_e32 v30, v30, v33
	v_sub_f32_e32 v33, v32, v31
	v_sub_f32_e32 v31, v31, v1
	v_sub_f32_e32 v32, v1, v32
	v_add_f32_e32 v1, v35, v1
	v_add_f32_e32 v4, v4, v30
	v_mul_f32_e32 v33, 0x3f08b237, v33
	v_mul_f32_e32 v36, 0xbf5ff5aa, v31
	;; [unrolled: 1-line block ×4, first 2 shown]
	v_fmamk_f32 v30, v30, 0xbf955555, v4
	v_fmamk_f32 v42, v32, 0xbeae86e6, v33
	v_fma_f32 v47, 0xbf5ff5aa, v31, -v33
	v_fma_f32 v48, 0x3eae86e6, v32, -v36
	v_fmamk_f32 v29, v29, 0x3d64c772, v28
	v_fma_f32 v35, 0x3f3bfb3b, v34, -v35
	v_fma_f32 v28, 0xbf3bfb3b, v34, -v28
	v_fmac_f32_e32 v42, 0xbee1c552, v1
	v_fmac_f32_e32 v47, 0xbee1c552, v1
	;; [unrolled: 1-line block ×3, first 2 shown]
	v_add_nc_u32_e32 v1, 0x200, v25
	v_add_f32_e32 v49, v29, v30
	v_add_f32_e32 v50, v35, v30
	;; [unrolled: 1-line block ×3, first 2 shown]
	buffer_gl0_inv
	ds_read2_b32 v[28:29], v25 offset1:112
	ds_read2_b32 v[34:35], v1 offset0:96 offset1:208
	v_add_nc_u32_e32 v1, 0xa00, v25
	v_add_nc_u32_e32 v30, 0xc00, v25
	;; [unrolled: 1-line block ×5, first 2 shown]
	ds_read2_b32 v[36:37], v1 offset0:32 offset1:144
	ds_read2_b32 v[30:31], v30 offset0:128 offset1:240
	;; [unrolled: 1-line block ×5, first 2 shown]
	ds_read_b32 v52, v25 offset:6272
	v_add_f32_e32 v5, v5, v19
	v_fmac_f32_e32 v43, 0xbee1c552, v6
	v_add_f32_e32 v2, v2, v19
	v_fmac_f32_e32 v45, 0xbee1c552, v6
	s_waitcnt lgkmcnt(0)
	s_barrier
	v_sub_f32_e32 v6, v5, v43
	buffer_gl0_inv
	v_sub_f32_e32 v19, v2, v45
	v_add_f32_e32 v1, v45, v2
	v_add_f32_e32 v2, v43, v5
	v_sub_f32_e32 v5, v49, v42
	v_sub_f32_e32 v43, v51, v48
	v_add_f32_e32 v45, v47, v50
	v_sub_f32_e32 v47, v50, v47
	v_add_f32_e32 v48, v48, v51
	v_add_f32_e32 v42, v42, v49
	ds_write2_b32 v20, v3, v6 offset1:48
	ds_write2_b32 v20, v19, v46 offset0:96 offset1:144
	ds_write2_b32 v20, v21, v1 offset0:192 offset1:240
	ds_write_b32 v20, v2 offset:1152
	ds_write2_b32 v17, v4, v5 offset1:48
	ds_write2_b32 v17, v43, v45 offset0:96 offset1:144
	ds_write2_b32 v17, v47, v48 offset0:192 offset1:240
	ds_write_b32 v17, v42 offset:1152
	s_and_saveexec_b32 s1, s0
	s_cbranch_execz .LBB0_49
; %bb.48:
	v_add_f32_e32 v1, v22, v10
	v_add_f32_e32 v2, v23, v8
	;; [unrolled: 1-line block ×3, first 2 shown]
	v_sub_f32_e32 v5, v11, v16
	v_sub_f32_e32 v6, v14, v13
	;; [unrolled: 1-line block ×3, first 2 shown]
	v_add_f32_e32 v7, v2, v1
	v_sub_f32_e32 v8, v2, v1
	v_sub_f32_e32 v1, v1, v4
	;; [unrolled: 1-line block ×3, first 2 shown]
	v_add_f32_e32 v9, v6, v5
	v_add_f32_e32 v4, v4, v7
	v_sub_f32_e32 v7, v6, v5
	v_sub_f32_e32 v5, v5, v3
	;; [unrolled: 1-line block ×3, first 2 shown]
	v_add_f32_e32 v3, v9, v3
	v_add_f32_e32 v0, v0, v4
	v_mul_f32_e32 v1, 0x3f4a47b2, v1
	v_mul_f32_e32 v9, 0x3d64c772, v2
	;; [unrolled: 1-line block ×4, first 2 shown]
	v_fmamk_f32 v4, v4, 0xbf955555, v0
	v_fmamk_f32 v2, v2, 0x3d64c772, v1
	v_fma_f32 v9, 0x3f3bfb3b, v8, -v9
	v_fma_f32 v1, 0xbf3bfb3b, v8, -v1
	v_fmamk_f32 v8, v6, 0xbeae86e6, v7
	v_fma_f32 v5, 0xbf5ff5aa, v5, -v7
	v_fma_f32 v6, 0x3eae86e6, v6, -v10
	v_add_f32_e32 v2, v2, v4
	v_add_f32_e32 v7, v9, v4
	v_fmac_f32_e32 v8, 0xbee1c552, v3
	v_fmac_f32_e32 v5, 0xbee1c552, v3
	v_add_f32_e32 v1, v1, v4
	v_fmac_f32_e32 v6, 0xbee1c552, v3
	v_sub_f32_e32 v3, v2, v8
	v_add_f32_e32 v9, v5, v7
	v_sub_f32_e32 v5, v7, v5
	v_add_nc_u32_e32 v7, 0x1400, v15
	v_sub_f32_e32 v4, v1, v6
	v_add_f32_e32 v1, v6, v1
	v_add_nc_u32_e32 v6, 0x1800, v15
	v_add_f32_e32 v2, v8, v2
	ds_write2_b32 v7, v0, v3 offset0:64 offset1:112
	ds_write2_b32 v7, v4, v9 offset0:160 offset1:208
	ds_write2_b32 v6, v5, v1 offset1:48
	ds_write_b32 v15, v2 offset:6528
.LBB0_49:
	s_or_b32 exec_lo, exec_lo, s1
	s_waitcnt lgkmcnt(0)
	s_barrier
	buffer_gl0_inv
	s_and_saveexec_b32 s0, vcc_lo
	s_cbranch_execz .LBB0_51
; %bb.50:
	v_lshlrev_b32_e32 v45, 2, v55
	v_mov_b32_e32 v46, 0
	v_add_nc_u32_e32 v47, 0xc00, v25
	v_add_nc_u32_e32 v48, 0x1000, v25
	;; [unrolled: 1-line block ×4, first 2 shown]
	v_lshlrev_b64 v[0:1], 3, v[45:46]
	v_lshlrev_b32_e32 v45, 2, v54
	v_add_nc_u32_e32 v51, 0x1400, v25
	v_mul_hi_u32 v44, 0x18618619, v44
	v_lshlrev_b64 v[6:7], 3, v[45:46]
	v_add_co_u32 v2, vcc_lo, s8, v0
	v_add_co_ci_u32_e32 v3, vcc_lo, s9, v1, vcc_lo
	v_lshlrev_b32_e32 v45, 2, v24
	v_add_co_u32 v0, vcc_lo, 0x800, v2
	v_add_co_ci_u32_e32 v1, vcc_lo, 0, v3, vcc_lo
	v_add_co_u32 v4, vcc_lo, 0xa70, v2
	v_add_co_ci_u32_e32 v5, vcc_lo, 0, v3, vcc_lo
	;; [unrolled: 2-line block ×3, first 2 shown]
	s_clause 0x1
	global_load_dwordx4 v[0:3], v[0:1], off offset:624
	global_load_dwordx4 v[16:19], v[4:5], off offset:16
	v_add_co_u32 v6, vcc_lo, 0xa70, v8
	v_add_co_ci_u32_e32 v7, vcc_lo, 0, v9, vcc_lo
	v_lshlrev_b64 v[4:5], 3, v[45:46]
	v_add_co_u32 v8, vcc_lo, 0x800, v8
	v_add_co_ci_u32_e32 v9, vcc_lo, 0, v9, vcc_lo
	s_clause 0x1
	global_load_dwordx4 v[20:23], v[6:7], off offset:16
	global_load_dwordx4 v[12:15], v[8:9], off offset:624
	v_add_co_u32 v6, vcc_lo, s8, v4
	v_add_co_ci_u32_e32 v7, vcc_lo, s9, v5, vcc_lo
	v_add_nc_u32_e32 v45, 0x600, v25
	v_add_co_u32 v4, vcc_lo, 0x800, v6
	v_add_co_ci_u32_e32 v5, vcc_lo, 0, v7, vcc_lo
	ds_read_b32 v53, v25 offset:6272
	ds_read2_b32 v[42:43], v25 offset1:112
	v_mov_b32_e32 v25, v46
	global_load_dwordx4 v[8:11], v[4:5], off offset:624
	v_add_co_u32 v4, vcc_lo, 0xa70, v6
	v_add_co_ci_u32_e32 v5, vcc_lo, 0, v7, vcc_lo
	v_lshlrev_b64 v[24:25], 3, v[24:25]
	v_add_co_u32 v26, vcc_lo, s2, v26
	global_load_dwordx4 v[4:7], v[4:5], off offset:16
	ds_read2_b32 v[54:55], v45 offset0:64 offset1:176
	ds_read2_b32 v[56:57], v47 offset0:128 offset1:240
	;; [unrolled: 1-line block ×6, first 2 shown]
	v_add_co_ci_u32_e32 v27, vcc_lo, s3, v27, vcc_lo
	v_lshrrev_b32_e32 v44, 1, v44
	v_add_co_u32 v24, vcc_lo, v26, v24
	v_add_co_ci_u32_e32 v25, vcc_lo, v27, v25, vcc_lo
	v_mul_u32_u24_e32 v45, 0x540, v44
	v_add_co_u32 v26, vcc_lo, 0x800, v24
	v_add_co_ci_u32_e32 v27, vcc_lo, 0, v25, vcc_lo
	v_add_co_u32 v44, vcc_lo, 0x1000, v24
	v_lshlrev_b64 v[50:51], 3, v[45:46]
	v_add_co_ci_u32_e32 v45, vcc_lo, 0, v25, vcc_lo
	v_add_co_u32 v46, vcc_lo, 0x1800, v24
	v_add_co_ci_u32_e32 v47, vcc_lo, 0, v25, vcc_lo
	v_add_co_u32 v48, vcc_lo, 0x2800, v24
	;; [unrolled: 2-line block ×8, first 2 shown]
	v_add_co_ci_u32_e32 v75, vcc_lo, 0, v51, vcc_lo
	s_waitcnt vmcnt(5)
	v_mul_f32_e32 v76, v39, v1
	v_mul_f32_e32 v77, v30, v3
	s_waitcnt lgkmcnt(5)
	v_mul_f32_e32 v1, v55, v1
	s_waitcnt lgkmcnt(4)
	v_mul_f32_e32 v78, v56, v3
	s_waitcnt vmcnt(4)
	v_mul_f32_e32 v3, v52, v19
	v_mul_f32_e32 v79, v41, v17
	;; [unrolled: 1-line block ×3, first 2 shown]
	s_waitcnt lgkmcnt(3)
	v_mul_f32_e32 v17, v59, v17
	v_fma_f32 v55, v0, v55, -v76
	v_fma_f32 v56, v2, v56, -v77
	v_fmac_f32_e32 v1, v39, v0
	v_fmac_f32_e32 v78, v30, v2
	v_fma_f32 v30, v18, v53, -v3
	v_fma_f32 v39, v16, v59, -v79
	v_fmac_f32_e32 v19, v52, v18
	v_fmac_f32_e32 v17, v41, v16
	s_waitcnt vmcnt(3)
	v_mul_f32_e32 v0, v40, v21
	v_mul_f32_e32 v18, v58, v21
	v_mul_f32_e32 v2, v33, v23
	s_waitcnt lgkmcnt(0)
	v_mul_f32_e32 v41, v65, v23
	s_waitcnt vmcnt(2)
	v_mul_f32_e32 v3, v38, v13
	v_mul_f32_e32 v13, v54, v13
	;; [unrolled: 1-line block ×4, first 2 shown]
	v_fma_f32 v21, v20, v58, -v0
	v_fmac_f32_e32 v18, v40, v20
	v_fma_f32 v23, v22, v65, -v2
	v_fmac_f32_e32 v41, v33, v22
	;; [unrolled: 2-line block ×4, first 2 shown]
	s_waitcnt vmcnt(1)
	v_mul_f32_e32 v0, v36, v11
	v_add_f32_e32 v2, v56, v39
	v_mul_f32_e32 v37, v62, v11
	v_mul_f32_e32 v3, v35, v9
	;; [unrolled: 1-line block ×3, first 2 shown]
	v_sub_f32_e32 v9, v1, v78
	v_add_f32_e32 v11, v78, v17
	v_sub_f32_e32 v40, v19, v17
	v_add_f32_e32 v52, v55, v30
	v_add_f32_e32 v53, v1, v19
	;; [unrolled: 1-line block ×4, first 2 shown]
	s_waitcnt vmcnt(0)
	v_mul_f32_e32 v79, v32, v7
	v_mul_f32_e32 v80, v31, v5
	;; [unrolled: 1-line block ×4, first 2 shown]
	v_sub_f32_e32 v22, v55, v56
	v_sub_f32_e32 v12, v30, v39
	v_sub_f32_e32 v33, v1, v19
	v_sub_f32_e32 v38, v78, v17
	v_sub_f32_e32 v58, v55, v30
	v_sub_f32_e32 v59, v56, v39
	v_sub_f32_e32 v55, v56, v55
	v_sub_f32_e32 v65, v39, v30
	v_sub_f32_e32 v76, v78, v1
	v_fma_f32 v62, v10, v62, -v0
	v_fmac_f32_e32 v37, v36, v10
	v_fma_f32 v36, v8, v61, -v3
	v_fmac_f32_e32 v14, v35, v8
	v_fma_f32 v1, -0.5, v2, v60
	v_fma_f32 v0, -0.5, v11, v34
	;; [unrolled: 1-line block ×4, first 2 shown]
	v_add_f32_e32 v34, v9, v40
	v_add_f32_e32 v5, v56, v54
	;; [unrolled: 1-line block ×3, first 2 shown]
	v_sub_f32_e32 v8, v20, v16
	v_fma_f32 v52, v6, v64, -v79
	v_sub_f32_e32 v9, v23, v21
	v_add_f32_e32 v10, v16, v21
	v_fma_f32 v53, v4, v57, -v80
	v_sub_f32_e32 v54, v13, v41
	v_fmac_f32_e32 v81, v32, v6
	v_sub_f32_e32 v6, v13, v15
	v_sub_f32_e32 v11, v41, v18
	v_fmac_f32_e32 v82, v31, v4
	v_add_f32_e32 v4, v15, v18
	v_add_f32_e32 v56, v20, v23
	v_sub_f32_e32 v57, v15, v13
	v_sub_f32_e32 v60, v18, v41
	v_add_f32_e32 v61, v13, v41
	v_add_f32_e32 v63, v20, v43
	;; [unrolled: 1-line block ×3, first 2 shown]
	v_sub_f32_e32 v77, v17, v19
	v_add_f32_e32 v22, v22, v12
	v_add_f32_e32 v35, v55, v65
	v_sub_f32_e32 v55, v15, v18
	v_sub_f32_e32 v31, v16, v21
	;; [unrolled: 1-line block ×5, first 2 shown]
	v_add_f32_e32 v20, v39, v5
	v_add_f32_e32 v17, v7, v17
	;; [unrolled: 1-line block ×4, first 2 shown]
	v_fma_f32 v5, -0.5, v10, v43
	v_fma_f32 v4, -0.5, v4, v29
	v_fmamk_f32 v7, v33, 0xbf737871, v1
	v_fmamk_f32 v6, v58, 0x3f737871, v0
	v_add_f32_e32 v57, v57, v60
	v_fma_f32 v9, -0.5, v56, v43
	v_fma_f32 v8, -0.5, v61, v29
	v_add_f32_e32 v29, v16, v63
	v_add_f32_e32 v43, v13, v15
	;; [unrolled: 1-line block ×7, first 2 shown]
	v_fmamk_f32 v11, v38, 0xbf737871, v3
	v_fmac_f32_e32 v1, 0x3f737871, v33
	v_fmac_f32_e32 v0, 0xbf737871, v58
	;; [unrolled: 1-line block ×3, first 2 shown]
	v_add_f32_e32 v63, v28, v14
	v_add_f32_e32 v40, v76, v77
	;; [unrolled: 1-line block ×3, first 2 shown]
	v_sub_f32_e32 v76, v36, v62
	v_sub_f32_e32 v78, v14, v37
	;; [unrolled: 1-line block ×8, first 2 shown]
	v_add_f32_e32 v12, v19, v17
	v_fma_f32 v15, -0.5, v15, v42
	v_fma_f32 v14, -0.5, v16, v28
	;; [unrolled: 1-line block ×4, first 2 shown]
	v_fmac_f32_e32 v7, 0xbf167918, v38
	v_fmac_f32_e32 v1, 0x3f167918, v38
	;; [unrolled: 1-line block ×6, first 2 shown]
	v_add_f32_e32 v28, v21, v29
	v_add_f32_e32 v29, v43, v18
	v_fmamk_f32 v21, v55, 0x3f737871, v9
	v_fmac_f32_e32 v9, 0xbf737871, v55
	v_add_f32_e32 v33, v63, v37
	v_add_f32_e32 v37, v62, v61
	v_fmamk_f32 v18, v64, 0x3f737871, v4
	v_fmac_f32_e32 v4, 0xbf737871, v64
	v_fmamk_f32 v19, v54, 0xbf737871, v5
	v_fmac_f32_e32 v5, 0x3f737871, v54
	v_add_f32_e32 v13, v30, v20
	v_fmamk_f32 v20, v31, 0xbf737871, v8
	v_fmac_f32_e32 v8, 0x3f737871, v31
	v_fmamk_f32 v10, v59, 0x3f737871, v2
	v_fmac_f32_e32 v2, 0xbf737871, v59
	v_sub_f32_e32 v77, v52, v53
	v_sub_f32_e32 v79, v81, v82
	;; [unrolled: 1-line block ×4, first 2 shown]
	v_fmac_f32_e32 v7, 0x3e9e377a, v22
	v_fmac_f32_e32 v1, 0x3e9e377a, v22
	;; [unrolled: 1-line block ×10, first 2 shown]
	v_add_f32_e32 v23, v23, v28
	v_add_f32_e32 v22, v41, v29
	v_fmamk_f32 v29, v86, 0xbf737871, v15
	v_fmamk_f32 v28, v36, 0x3f737871, v14
	;; [unrolled: 1-line block ×4, first 2 shown]
	v_fmac_f32_e32 v15, 0x3f737871, v86
	v_fmac_f32_e32 v14, 0xbf737871, v36
	v_add_f32_e32 v34, v53, v37
	v_add_f32_e32 v35, v33, v82
	v_fmac_f32_e32 v17, 0x3f737871, v87
	v_fmac_f32_e32 v16, 0xbf737871, v88
	;; [unrolled: 1-line block ×8, first 2 shown]
	v_add_f32_e32 v38, v76, v77
	v_add_f32_e32 v42, v78, v79
	;; [unrolled: 1-line block ×4, first 2 shown]
	v_fmac_f32_e32 v21, 0x3e9e377a, v32
	v_fmac_f32_e32 v9, 0x3e9e377a, v32
	;; [unrolled: 1-line block ×8, first 2 shown]
	v_add_f32_e32 v33, v52, v34
	v_add_f32_e32 v32, v81, v35
	v_fmac_f32_e32 v17, 0xbf167918, v86
	v_fmac_f32_e32 v16, 0x3f167918, v36
	;; [unrolled: 1-line block ×10, first 2 shown]
	global_store_dwordx2 v[24:25], v[22:23], off offset:896
	v_fmac_f32_e32 v29, 0x3e9e377a, v38
	v_fmac_f32_e32 v28, 0x3e9e377a, v42
	;; [unrolled: 1-line block ×8, first 2 shown]
	global_store_dwordx2 v[24:25], v[32:33], off
	global_store_dwordx2 v[26:27], v[4:5], off offset:1536
	global_store_dwordx2 v[46:47], v[8:9], off offset:128
	;; [unrolled: 1-line block ×13, first 2 shown]
.LBB0_51:
	s_endpgm
	.section	.rodata,"a",@progbits
	.p2align	6, 0x0
	.amdhsa_kernel fft_rtc_back_len1680_factors_2_2_2_2_3_7_5_wgs_112_tpt_112_halfLds_sp_ip_CI_unitstride_sbrr_dirReg
		.amdhsa_group_segment_fixed_size 0
		.amdhsa_private_segment_fixed_size 0
		.amdhsa_kernarg_size 88
		.amdhsa_user_sgpr_count 6
		.amdhsa_user_sgpr_private_segment_buffer 1
		.amdhsa_user_sgpr_dispatch_ptr 0
		.amdhsa_user_sgpr_queue_ptr 0
		.amdhsa_user_sgpr_kernarg_segment_ptr 1
		.amdhsa_user_sgpr_dispatch_id 0
		.amdhsa_user_sgpr_flat_scratch_init 0
		.amdhsa_user_sgpr_private_segment_size 0
		.amdhsa_wavefront_size32 1
		.amdhsa_uses_dynamic_stack 0
		.amdhsa_system_sgpr_private_segment_wavefront_offset 0
		.amdhsa_system_sgpr_workgroup_id_x 1
		.amdhsa_system_sgpr_workgroup_id_y 0
		.amdhsa_system_sgpr_workgroup_id_z 0
		.amdhsa_system_sgpr_workgroup_info 0
		.amdhsa_system_vgpr_workitem_id 0
		.amdhsa_next_free_vgpr 89
		.amdhsa_next_free_sgpr 21
		.amdhsa_reserve_vcc 1
		.amdhsa_reserve_flat_scratch 0
		.amdhsa_float_round_mode_32 0
		.amdhsa_float_round_mode_16_64 0
		.amdhsa_float_denorm_mode_32 3
		.amdhsa_float_denorm_mode_16_64 3
		.amdhsa_dx10_clamp 1
		.amdhsa_ieee_mode 1
		.amdhsa_fp16_overflow 0
		.amdhsa_workgroup_processor_mode 1
		.amdhsa_memory_ordered 1
		.amdhsa_forward_progress 0
		.amdhsa_shared_vgpr_count 0
		.amdhsa_exception_fp_ieee_invalid_op 0
		.amdhsa_exception_fp_denorm_src 0
		.amdhsa_exception_fp_ieee_div_zero 0
		.amdhsa_exception_fp_ieee_overflow 0
		.amdhsa_exception_fp_ieee_underflow 0
		.amdhsa_exception_fp_ieee_inexact 0
		.amdhsa_exception_int_div_zero 0
	.end_amdhsa_kernel
	.text
.Lfunc_end0:
	.size	fft_rtc_back_len1680_factors_2_2_2_2_3_7_5_wgs_112_tpt_112_halfLds_sp_ip_CI_unitstride_sbrr_dirReg, .Lfunc_end0-fft_rtc_back_len1680_factors_2_2_2_2_3_7_5_wgs_112_tpt_112_halfLds_sp_ip_CI_unitstride_sbrr_dirReg
                                        ; -- End function
	.section	.AMDGPU.csdata,"",@progbits
; Kernel info:
; codeLenInByte = 11064
; NumSgprs: 23
; NumVgprs: 89
; ScratchSize: 0
; MemoryBound: 0
; FloatMode: 240
; IeeeMode: 1
; LDSByteSize: 0 bytes/workgroup (compile time only)
; SGPRBlocks: 2
; VGPRBlocks: 11
; NumSGPRsForWavesPerEU: 23
; NumVGPRsForWavesPerEU: 89
; Occupancy: 10
; WaveLimiterHint : 1
; COMPUTE_PGM_RSRC2:SCRATCH_EN: 0
; COMPUTE_PGM_RSRC2:USER_SGPR: 6
; COMPUTE_PGM_RSRC2:TRAP_HANDLER: 0
; COMPUTE_PGM_RSRC2:TGID_X_EN: 1
; COMPUTE_PGM_RSRC2:TGID_Y_EN: 0
; COMPUTE_PGM_RSRC2:TGID_Z_EN: 0
; COMPUTE_PGM_RSRC2:TIDIG_COMP_CNT: 0
	.text
	.p2alignl 6, 3214868480
	.fill 48, 4, 3214868480
	.type	__hip_cuid_f4ad28a76c772299,@object ; @__hip_cuid_f4ad28a76c772299
	.section	.bss,"aw",@nobits
	.globl	__hip_cuid_f4ad28a76c772299
__hip_cuid_f4ad28a76c772299:
	.byte	0                               ; 0x0
	.size	__hip_cuid_f4ad28a76c772299, 1

	.ident	"AMD clang version 19.0.0git (https://github.com/RadeonOpenCompute/llvm-project roc-6.4.0 25133 c7fe45cf4b819c5991fe208aaa96edf142730f1d)"
	.section	".note.GNU-stack","",@progbits
	.addrsig
	.addrsig_sym __hip_cuid_f4ad28a76c772299
	.amdgpu_metadata
---
amdhsa.kernels:
  - .args:
      - .actual_access:  read_only
        .address_space:  global
        .offset:         0
        .size:           8
        .value_kind:     global_buffer
      - .offset:         8
        .size:           8
        .value_kind:     by_value
      - .actual_access:  read_only
        .address_space:  global
        .offset:         16
        .size:           8
        .value_kind:     global_buffer
      - .actual_access:  read_only
        .address_space:  global
        .offset:         24
        .size:           8
        .value_kind:     global_buffer
      - .offset:         32
        .size:           8
        .value_kind:     by_value
      - .actual_access:  read_only
        .address_space:  global
        .offset:         40
        .size:           8
        .value_kind:     global_buffer
      - .actual_access:  read_only
        .address_space:  global
        .offset:         48
        .size:           8
        .value_kind:     global_buffer
      - .offset:         56
        .size:           4
        .value_kind:     by_value
      - .actual_access:  read_only
        .address_space:  global
        .offset:         64
        .size:           8
        .value_kind:     global_buffer
      - .actual_access:  read_only
        .address_space:  global
        .offset:         72
        .size:           8
        .value_kind:     global_buffer
      - .address_space:  global
        .offset:         80
        .size:           8
        .value_kind:     global_buffer
    .group_segment_fixed_size: 0
    .kernarg_segment_align: 8
    .kernarg_segment_size: 88
    .language:       OpenCL C
    .language_version:
      - 2
      - 0
    .max_flat_workgroup_size: 112
    .name:           fft_rtc_back_len1680_factors_2_2_2_2_3_7_5_wgs_112_tpt_112_halfLds_sp_ip_CI_unitstride_sbrr_dirReg
    .private_segment_fixed_size: 0
    .sgpr_count:     23
    .sgpr_spill_count: 0
    .symbol:         fft_rtc_back_len1680_factors_2_2_2_2_3_7_5_wgs_112_tpt_112_halfLds_sp_ip_CI_unitstride_sbrr_dirReg.kd
    .uniform_work_group_size: 1
    .uses_dynamic_stack: false
    .vgpr_count:     89
    .vgpr_spill_count: 0
    .wavefront_size: 32
    .workgroup_processor_mode: 1
amdhsa.target:   amdgcn-amd-amdhsa--gfx1030
amdhsa.version:
  - 1
  - 2
...

	.end_amdgpu_metadata
